;; amdgpu-corpus repo=ROCm/rocFFT kind=compiled arch=gfx906 opt=O3
	.text
	.amdgcn_target "amdgcn-amd-amdhsa--gfx906"
	.amdhsa_code_object_version 6
	.protected	fft_rtc_back_len625_factors_5_5_5_5_wgs_125_tpt_125_half_op_CI_CI_sbrc_z_xy_diag ; -- Begin function fft_rtc_back_len625_factors_5_5_5_5_wgs_125_tpt_125_half_op_CI_CI_sbrc_z_xy_diag
	.globl	fft_rtc_back_len625_factors_5_5_5_5_wgs_125_tpt_125_half_op_CI_CI_sbrc_z_xy_diag
	.p2align	8
	.type	fft_rtc_back_len625_factors_5_5_5_5_wgs_125_tpt_125_half_op_CI_CI_sbrc_z_xy_diag,@function
fft_rtc_back_len625_factors_5_5_5_5_wgs_125_tpt_125_half_op_CI_CI_sbrc_z_xy_diag: ; @fft_rtc_back_len625_factors_5_5_5_5_wgs_125_tpt_125_half_op_CI_CI_sbrc_z_xy_diag
; %bb.0:
	s_load_dwordx8 s[8:15], s[4:5], 0x0
	v_mov_b32_e32 v5, 0xfffffe0c
	v_mov_b32_e32 v6, 0x7d
	s_waitcnt lgkmcnt(0)
	s_load_dwordx4 s[0:3], s[12:13], 0x8
	s_nop 0
	s_load_dwordx2 s[12:13], s[4:5], 0x20
	s_load_dwordx4 s[20:23], s[14:15], 0x0
	s_waitcnt lgkmcnt(0)
	s_load_dword s1, s[14:15], 0x10
	s_mul_i32 s0, s2, s0
	v_cvt_f32_u32_e32 v1, s0
	s_sub_i32 s2, 0, s0
	s_load_dwordx4 s[16:19], s[12:13], 0x0
	s_waitcnt lgkmcnt(0)
	s_load_dword s19, s[12:13], 0x10
	v_rcp_iflag_f32_e32 v1, v1
	v_mov_b32_e32 v8, s22
	v_mul_f32_e32 v1, 0x4f7ffffe, v1
	v_cvt_u32_f32_e32 v1, v1
	v_readfirstlane_b32 s3, v1
	s_mul_i32 s2, s2, s3
	s_mul_hi_u32 s2, s3, s2
	s_add_i32 s3, s3, s2
	s_mul_hi_u32 s2, s6, s3
	s_mul_i32 s3, s2, s0
	s_sub_i32 s3, s6, s3
	s_add_i32 s7, s2, 1
	s_sub_i32 s23, s3, s0
	s_cmp_ge_u32 s3, s0
	s_cselect_b32 s2, s7, s2
	s_cselect_b32 s3, s23, s3
	s_add_i32 s7, s2, 1
	s_cmp_ge_u32 s3, s0
	s_cselect_b32 s23, s7, s2
	s_mul_i32 s0, s23, s0
	s_sub_i32 s0, s6, s0
	s_mul_hi_u32 s2, s0, 0x10624dd3
	s_lshr_b32 s2, s2, 3
	s_mul_i32 s3, s2, 0x7d
	s_sub_i32 s6, s0, s3
	s_add_i32 s2, s2, s6
	s_lshl_b64 s[24:25], s[10:11], 3
	s_mul_i32 s3, s17, s6
	s_mul_hi_u32 s7, s16, s6
	s_mul_hi_u32 s10, s2, 0xd1b71759
	s_add_i32 s7, s7, s3
	s_lshr_b32 s3, s10, 9
	s_mulk_i32 s3, 0x271
	s_sub_i32 s17, s2, s3
	s_mul_i32 s0, s6, s22
	s_mul_i32 s1, s17, s1
	s_add_i32 s10, s1, s0
	s_add_u32 s14, s14, s24
	s_addc_u32 s15, s15, s25
	s_load_dwordx2 s[26:27], s[14:15], 0x0
	s_load_dwordx4 s[0:3], s[4:5], 0x58
	s_movk_i32 s5, 0x271
	v_add_u32_e32 v1, 0xfffffd8f, v0
	v_cmp_gt_u32_e32 vcc, s5, v0
	s_waitcnt lgkmcnt(0)
	s_mul_i32 s4, s27, s23
	s_mul_hi_u32 s14, s26, s23
	s_add_i32 s15, s14, s4
	s_add_u32 s4, s12, s24
	v_cndmask_b32_e32 v2, v1, v0, vcc
	v_mad_u64_u32 v[3:4], s[28:29], s20, v2, 0
	s_addc_u32 s5, s13, s25
	s_load_dwordx2 s[4:5], s[4:5], 0x0
	v_mov_b32_e32 v1, v4
	v_mad_u64_u32 v[1:2], s[12:13], s21, v2, v[1:2]
	s_mul_i32 s14, s26, s23
	s_waitcnt lgkmcnt(0)
	s_mul_i32 s5, s5, s23
	s_mul_hi_u32 s12, s4, s23
	s_add_i32 s5, s12, s5
	s_movk_i32 s12, 0x270
	v_cmp_lt_u32_e32 vcc, s12, v0
	s_lshl_b64 s[12:13], s[14:15], 2
	s_mov_b32 s11, 0
	s_add_u32 s12, s0, s12
	s_addc_u32 s13, s1, s13
	s_lshl_b64 s[0:1], s[10:11], 2
	s_add_u32 s10, s12, s0
	s_movk_i32 s0, 0x1f4
	v_mov_b32_e32 v4, v1
	v_cndmask_b32_e32 v1, 0, v8, vcc
	v_cmp_gt_u32_e32 vcc, s0, v0
	v_cndmask_b32_e32 v5, v5, v6, vcc
	v_add_u32_e32 v9, v0, v5
	s_addc_u32 s12, s13, s1
	v_lshlrev_b64 v[3:4], 2, v[3:4]
	v_mad_u64_u32 v[5:6], s[0:1], s20, v9, 0
	v_mov_b32_e32 v2, 0
	v_mov_b32_e32 v7, s12
	v_add_co_u32_e32 v10, vcc, s10, v3
	v_addc_co_u32_e32 v11, vcc, v7, v4, vcc
	v_lshlrev_b64 v[3:4], 2, v[1:2]
	v_mov_b32_e32 v1, v6
	v_mad_u64_u32 v[6:7], s[0:1], s21, v9, v[1:2]
	v_add_co_u32_e32 v3, vcc, v10, v3
	v_addc_co_u32_e32 v4, vcc, v11, v4, vcc
	s_movk_i32 s0, 0x1f3
	v_cmp_lt_u32_e32 vcc, s0, v0
	v_add_u32_e32 v10, 0xfa, v0
	v_cndmask_b32_e32 v1, 0, v8, vcc
	v_mad_u64_u32 v[7:8], s[0:1], s20, v10, 0
	v_lshlrev_b64 v[5:6], 2, v[5:6]
	v_mov_b32_e32 v9, s12
	v_add_co_u32_e32 v11, vcc, s10, v5
	v_addc_co_u32_e32 v12, vcc, v9, v6, vcc
	v_lshlrev_b64 v[5:6], 2, v[1:2]
	v_mov_b32_e32 v1, v8
	v_mad_u64_u32 v[8:9], s[0:1], s21, v10, v[1:2]
	v_add_co_u32_e32 v5, vcc, v11, v5
	v_add_u32_e32 v11, 0x177, v0
	v_mad_u64_u32 v[9:10], s[0:1], s20, v11, 0
	v_lshlrev_b64 v[7:8], 2, v[7:8]
	v_addc_co_u32_e32 v6, vcc, v12, v6, vcc
	v_mov_b32_e32 v1, s12
	v_add_co_u32_e32 v7, vcc, s10, v7
	v_addc_co_u32_e32 v8, vcc, v1, v8, vcc
	v_mov_b32_e32 v1, v10
	v_mad_u64_u32 v[10:11], s[0:1], s21, v11, v[1:2]
	v_add_u32_e32 v1, 0x1f4, v0
	v_mul_u32_u24_e32 v11, 0x69, v1
	v_lshrrev_b32_e32 v14, 16, v11
	v_mul_lo_u16_e32 v11, 0x271, v14
	v_sub_u16_e32 v13, v1, v11
	v_mad_u64_u32 v[11:12], s[0:1], s20, v13, 0
	v_lshlrev_b64 v[9:10], 2, v[9:10]
	v_mov_b32_e32 v15, s12
	v_mov_b32_e32 v1, v12
	v_mad_u64_u32 v[12:13], s[0:1], s21, v13, v[1:2]
	v_mul_lo_u32 v1, s22, v14
	v_add_co_u32_e32 v9, vcc, s10, v9
	v_lshlrev_b64 v[11:12], 2, v[11:12]
	v_addc_co_u32_e32 v10, vcc, v15, v10, vcc
	v_mov_b32_e32 v13, s12
	v_add_co_u32_e32 v14, vcc, s10, v11
	v_addc_co_u32_e32 v13, vcc, v13, v12, vcc
	v_lshlrev_b64 v[11:12], 2, v[1:2]
	s_movk_i32 s0, 0x7d
	v_add_co_u32_e32 v11, vcc, v14, v11
	v_addc_co_u32_e32 v12, vcc, v13, v12, vcc
	global_load_dword v1, v[3:4], off
	global_load_dword v13, v[5:6], off
	;; [unrolled: 1-line block ×5, first 2 shown]
	v_lshl_add_u32 v11, v0, 2, 0
	v_add_u32_e32 v12, 0x200, v11
	s_movk_i32 s1, 0x38b4
	s_mov_b32 s10, 0xffff
	s_movk_i32 s12, 0x34f2
	s_mov_b32 s13, 0xbb9c
	s_mov_b32 s14, 0xb8b4
	s_mul_i32 s4, s4, s23
	s_mul_i32 s6, s16, s6
	s_waitcnt vmcnt(3)
	ds_write2_b32 v11, v1, v13 offset1:125
	v_mul_u32_u24_e32 v1, 0x20d, v0
	v_mul_lo_u16_sdwa v1, v1, s0 dst_sel:DWORD dst_unused:UNUSED_PAD src0_sel:WORD_1 src1_sel:DWORD
	v_sub_u16_e32 v1, v0, v1
	v_lshl_add_u32 v13, v1, 2, 0
	s_waitcnt vmcnt(1)
	ds_write2_b32 v12, v14, v15 offset0:122 offset1:247
	s_waitcnt vmcnt(0)
	ds_write_b32 v11, v16 offset:2000
	v_add_u32_e32 v14, 0x200, v13
	s_waitcnt lgkmcnt(0)
	s_barrier
	ds_read2_b32 v[3:4], v13 offset1:125
	ds_read2_b32 v[5:6], v14 offset0:122 offset1:247
	ds_read_b32 v7, v13 offset:2000
	s_movk_i32 s0, 0x3b9c
	v_lshlrev_b32_e32 v15, 4, v1
	s_waitcnt lgkmcnt(2)
	v_pk_add_f16 v9, v3, v4
	s_waitcnt lgkmcnt(1)
	v_pk_add_f16 v10, v5, v6
	s_waitcnt lgkmcnt(0)
	v_pk_add_f16 v16, v4, v7 neg_lo:[0,1] neg_hi:[0,1]
	v_pk_fma_f16 v10, v10, 0.5, v3 op_sel_hi:[1,0,1] neg_lo:[1,0,0] neg_hi:[1,0,0]
	v_pk_mul_f16 v17, v16, s0 op_sel_hi:[1,0]
	v_pk_add_f16 v18, v5, v6 neg_lo:[0,1] neg_hi:[0,1]
	v_pk_add_f16 v20, v4, v5 neg_lo:[0,1] neg_hi:[0,1]
	;; [unrolled: 1-line block ×3, first 2 shown]
	v_pk_mul_f16 v19, v18, s1 op_sel_hi:[1,0]
	v_pk_add_f16 v20, v20, v21
	v_pk_add_f16 v21, v10, v17 op_sel:[0,1] op_sel_hi:[1,0] neg_lo:[0,1] neg_hi:[0,1]
	v_pk_add_f16 v10, v10, v17 op_sel:[0,1] op_sel_hi:[1,0]
	v_pk_add_f16 v9, v9, v5
	v_pk_add_f16 v17, v21, v19 op_sel:[0,1] op_sel_hi:[1,0] neg_lo:[0,1] neg_hi:[0,1]
	v_pk_add_f16 v10, v10, v19 op_sel:[0,1] op_sel_hi:[1,0]
	v_pk_add_f16 v9, v9, v6
	v_bfi_b32 v19, s10, v17, v10
	v_add_u32_e32 v8, v13, v15
	v_pk_add_f16 v9, v9, v7
	v_pk_fma_f16 v19, v20, s12, v19 op_sel_hi:[1,0,1]
	s_barrier
	ds_write2_b32 v8, v9, v19 offset1:1
	v_pk_add_f16 v9, v4, v7
	v_pk_add_f16 v4, v5, v4 neg_lo:[0,1] neg_hi:[0,1]
	v_pk_add_f16 v5, v6, v7 neg_lo:[0,1] neg_hi:[0,1]
	v_pk_fma_f16 v3, v9, 0.5, v3 op_sel_hi:[1,0,1] neg_lo:[1,0,0] neg_hi:[1,0,0]
	v_pk_add_f16 v4, v4, v5
	v_pk_mul_f16 v5, v18, s0 op_sel_hi:[1,0]
	v_pk_mul_f16 v6, v16, s1 op_sel_hi:[1,0]
	v_pk_add_f16 v7, v3, v5 op_sel:[0,1] op_sel_hi:[1,0]
	v_pk_add_f16 v3, v3, v5 op_sel:[0,1] op_sel_hi:[1,0] neg_lo:[0,1] neg_hi:[0,1]
	v_pk_add_f16 v5, v7, v6 op_sel:[0,1] op_sel_hi:[1,0] neg_lo:[0,1] neg_hi:[0,1]
	v_pk_add_f16 v3, v3, v6 op_sel:[0,1] op_sel_hi:[1,0]
	v_bfi_b32 v6, s10, v5, v3
	v_bfi_b32 v3, s10, v3, v5
	v_pk_fma_f16 v6, v4, s12, v6 op_sel_hi:[1,0,1]
	v_pk_fma_f16 v3, v4, s12, v3 op_sel_hi:[1,0,1]
	ds_write2_b32 v8, v6, v3 offset0:2 offset1:3
	v_bfi_b32 v3, s10, v10, v17
	v_pk_fma_f16 v3, v20, s12, v3 op_sel_hi:[1,0,1]
	ds_write_b32 v8, v3 offset:16
	v_mul_lo_u16_e32 v3, 0x67, v1
	v_lshrrev_b16_e32 v16, 9, v3
	v_mul_lo_u16_e32 v3, 5, v16
	v_sub_u16_e32 v17, v1, v3
	v_mov_b32_e32 v18, 4
	v_lshlrev_b32_sdwa v3, v18, v17 dst_sel:DWORD dst_unused:UNUSED_PAD src0_sel:DWORD src1_sel:BYTE_0
	s_waitcnt lgkmcnt(0)
	s_barrier
	global_load_dwordx4 v[3:6], v3, s[8:9]
	ds_read2_b32 v[7:8], v13 offset1:125
	ds_read2_b32 v[9:10], v14 offset0:122 offset1:247
	ds_read_b32 v19, v13 offset:2000
	s_mul_i32 s10, s17, s18
	s_waitcnt lgkmcnt(2)
	v_lshrrev_b32_e32 v20, 16, v8
	s_waitcnt vmcnt(0)
	v_mul_f16_sdwa v21, v3, v20 dst_sel:DWORD dst_unused:UNUSED_PAD src0_sel:WORD_1 src1_sel:DWORD
	v_fma_f16 v21, v3, v8, v21
	v_mul_f16_sdwa v8, v3, v8 dst_sel:DWORD dst_unused:UNUSED_PAD src0_sel:WORD_1 src1_sel:DWORD
	v_fma_f16 v3, v3, v20, -v8
	s_waitcnt lgkmcnt(1)
	v_lshrrev_b32_e32 v8, 16, v9
	v_mul_f16_sdwa v20, v4, v8 dst_sel:DWORD dst_unused:UNUSED_PAD src0_sel:WORD_1 src1_sel:DWORD
	v_fma_f16 v20, v4, v9, v20
	v_mul_f16_sdwa v9, v4, v9 dst_sel:DWORD dst_unused:UNUSED_PAD src0_sel:WORD_1 src1_sel:DWORD
	v_fma_f16 v4, v4, v8, -v9
	v_lshrrev_b32_e32 v8, 16, v10
	v_mul_f16_sdwa v9, v5, v8 dst_sel:DWORD dst_unused:UNUSED_PAD src0_sel:WORD_1 src1_sel:DWORD
	v_fma_f16 v9, v5, v10, v9
	v_mul_f16_sdwa v10, v5, v10 dst_sel:DWORD dst_unused:UNUSED_PAD src0_sel:WORD_1 src1_sel:DWORD
	v_fma_f16 v5, v5, v8, -v10
	s_waitcnt lgkmcnt(0)
	v_lshrrev_b32_e32 v8, 16, v19
	v_mul_f16_sdwa v10, v6, v8 dst_sel:DWORD dst_unused:UNUSED_PAD src0_sel:WORD_1 src1_sel:DWORD
	v_fma_f16 v10, v6, v19, v10
	v_mul_f16_sdwa v19, v6, v19 dst_sel:DWORD dst_unused:UNUSED_PAD src0_sel:WORD_1 src1_sel:DWORD
	v_fma_f16 v6, v6, v8, -v19
	v_add_f16_e32 v19, v20, v9
	v_fma_f16 v19, v19, -0.5, v7
	v_sub_f16_e32 v22, v3, v6
	v_sub_f16_e32 v24, v21, v20
	;; [unrolled: 1-line block ×3, first 2 shown]
	v_fma_f16 v23, v22, s13, v19
	v_add_f16_e32 v24, v24, v25
	v_sub_f16_e32 v25, v4, v5
	v_fma_f16 v19, v22, s0, v19
	v_fma_f16 v23, v25, s14, v23
	;; [unrolled: 1-line block ×5, first 2 shown]
	v_add_f16_e32 v24, v21, v10
	v_add_f16_e32 v8, v21, v7
	v_fma_f16 v7, v24, -0.5, v7
	v_sub_f16_e32 v24, v20, v21
	v_sub_f16_e32 v26, v9, v10
	v_add_f16_e32 v24, v24, v26
	v_fma_f16 v26, v25, s0, v7
	v_fma_f16 v7, v25, s13, v7
	ds_read_u16 v25, v13 offset:2
	v_fma_f16 v26, v22, s14, v26
	v_fma_f16 v7, v22, s1, v7
	v_add_f16_e32 v8, v8, v20
	v_add_f16_e32 v8, v8, v9
	v_fma_f16 v26, v24, s12, v26
	v_fma_f16 v7, v24, s12, v7
	v_add_f16_e32 v24, v4, v5
	v_add_f16_e32 v8, v8, v10
	s_waitcnt lgkmcnt(0)
	v_fma_f16 v24, v24, -0.5, v25
	v_sub_f16_e32 v10, v21, v10
	v_sub_f16_e32 v9, v20, v9
	;; [unrolled: 1-line block ×4, first 2 shown]
	v_add_f16_e32 v20, v20, v21
	v_fma_f16 v21, v10, s0, v24
	v_fma_f16 v24, v10, s13, v24
	;; [unrolled: 1-line block ×6, first 2 shown]
	v_add_f16_e32 v24, v3, v6
	v_fma_f16 v24, v24, -0.5, v25
	v_add_f16_e32 v25, v25, v3
	v_add_f16_e32 v25, v25, v4
	;; [unrolled: 1-line block ×3, first 2 shown]
	v_sub_f16_e32 v3, v4, v3
	v_sub_f16_e32 v5, v5, v6
	v_fma_f16 v4, v9, s13, v24
	v_add_f16_e32 v3, v3, v5
	v_fma_f16 v5, v9, s0, v24
	v_mov_b32_e32 v22, 2
	v_fma_f16 v4, v10, s1, v4
	v_fma_f16 v5, v10, s14, v5
	v_lshlrev_b32_sdwa v17, v22, v17 dst_sel:DWORD dst_unused:UNUSED_PAD src0_sel:DWORD src1_sel:BYTE_0
	v_fma_f16 v4, v3, s12, v4
	v_fma_f16 v3, v3, s12, v5
	v_mul_u32_u24_e32 v5, 0x64, v16
	v_add3_u32 v5, 0, v5, v17
	v_pack_b32_f16 v4, v26, v4
	v_pack_b32_f16 v3, v7, v3
	s_barrier
	ds_write2_b32 v5, v4, v3 offset0:10 offset1:15
	v_pack_b32_f16 v3, v19, v20
	ds_write_b32 v5, v3 offset:80
	v_mul_lo_u16_e32 v3, 41, v1
	v_lshrrev_b16_e32 v16, 10, v3
	v_mul_lo_u16_e32 v3, 25, v16
	v_add_f16_e32 v25, v25, v6
	v_sub_u16_e32 v1, v1, v3
	v_pack_b32_f16 v6, v8, v25
	v_pack_b32_f16 v8, v23, v21
	v_lshlrev_b32_sdwa v3, v18, v1 dst_sel:DWORD dst_unused:UNUSED_PAD src0_sel:DWORD src1_sel:BYTE_0
	ds_write2_b32 v5, v6, v8 offset1:5
	s_waitcnt lgkmcnt(0)
	s_barrier
	global_load_dwordx4 v[3:6], v3, s[8:9] offset:80
	ds_read2_b32 v[7:8], v13 offset1:125
	ds_read2_b32 v[9:10], v14 offset0:122 offset1:247
	ds_read_u16 v17, v13 offset:2
	ds_read_b32 v18, v13 offset:2000
	v_lshlrev_b32_sdwa v1, v22, v1 dst_sel:DWORD dst_unused:UNUSED_PAD src0_sel:DWORD src1_sel:BYTE_0
	s_waitcnt lgkmcnt(3)
	v_lshrrev_b32_e32 v19, 16, v8
	s_waitcnt vmcnt(0) lgkmcnt(0)
	s_barrier
	v_mul_f16_sdwa v20, v3, v19 dst_sel:DWORD dst_unused:UNUSED_PAD src0_sel:WORD_1 src1_sel:DWORD
	v_fma_f16 v20, v3, v8, v20
	v_mul_f16_sdwa v8, v3, v8 dst_sel:DWORD dst_unused:UNUSED_PAD src0_sel:WORD_1 src1_sel:DWORD
	v_fma_f16 v3, v3, v19, -v8
	v_lshrrev_b32_e32 v8, 16, v9
	v_mul_f16_sdwa v19, v4, v8 dst_sel:DWORD dst_unused:UNUSED_PAD src0_sel:WORD_1 src1_sel:DWORD
	v_fma_f16 v19, v4, v9, v19
	v_mul_f16_sdwa v9, v4, v9 dst_sel:DWORD dst_unused:UNUSED_PAD src0_sel:WORD_1 src1_sel:DWORD
	v_fma_f16 v4, v4, v8, -v9
	v_lshrrev_b32_e32 v8, 16, v10
	;; [unrolled: 5-line block ×3, first 2 shown]
	v_mul_f16_sdwa v10, v6, v8 dst_sel:DWORD dst_unused:UNUSED_PAD src0_sel:WORD_1 src1_sel:DWORD
	v_fma_f16 v10, v6, v18, v10
	v_mul_f16_sdwa v18, v6, v18 dst_sel:DWORD dst_unused:UNUSED_PAD src0_sel:WORD_1 src1_sel:DWORD
	v_fma_f16 v6, v6, v8, -v18
	v_add_f16_e32 v18, v19, v9
	v_fma_f16 v18, v18, -0.5, v7
	v_sub_f16_e32 v21, v3, v6
	v_fma_f16 v22, v21, s13, v18
	v_sub_f16_e32 v23, v4, v5
	v_sub_f16_e32 v24, v20, v19
	;; [unrolled: 1-line block ×3, first 2 shown]
	v_fma_f16 v18, v21, s0, v18
	v_fma_f16 v22, v23, s14, v22
	v_add_f16_e32 v24, v24, v25
	v_fma_f16 v18, v23, s1, v18
	v_add_f16_e32 v8, v20, v7
	v_fma_f16 v22, v24, s12, v22
	v_fma_f16 v18, v24, s12, v18
	v_add_f16_e32 v24, v20, v10
	v_add_f16_e32 v8, v8, v19
	v_fma_f16 v7, v24, -0.5, v7
	v_add_f16_e32 v8, v8, v9
	v_fma_f16 v24, v23, s0, v7
	v_fma_f16 v7, v23, s13, v7
	v_add_f16_e32 v23, v4, v5
	v_add_f16_e32 v8, v8, v10
	v_sub_f16_e32 v25, v19, v20
	v_sub_f16_e32 v26, v9, v10
	v_fma_f16 v23, v23, -0.5, v17
	v_sub_f16_e32 v10, v20, v10
	v_fma_f16 v24, v21, s14, v24
	v_add_f16_e32 v25, v25, v26
	v_fma_f16 v7, v21, s1, v7
	v_fma_f16 v20, v10, s0, v23
	v_sub_f16_e32 v9, v19, v9
	v_fma_f16 v24, v25, s12, v24
	v_fma_f16 v7, v25, s12, v7
	;; [unrolled: 1-line block ×3, first 2 shown]
	v_sub_f16_e32 v20, v3, v4
	v_sub_f16_e32 v25, v6, v5
	v_fma_f16 v23, v10, s13, v23
	v_add_f16_e32 v20, v20, v25
	v_fma_f16 v23, v9, s14, v23
	v_add_f16_e32 v21, v17, v3
	v_fma_f16 v19, v20, s12, v19
	v_fma_f16 v20, v20, s12, v23
	v_add_f16_e32 v23, v3, v6
	v_add_f16_e32 v21, v21, v4
	v_fma_f16 v17, v23, -0.5, v17
	v_add_f16_e32 v21, v21, v5
	v_fma_f16 v23, v9, s13, v17
	v_sub_f16_e32 v3, v4, v3
	v_sub_f16_e32 v4, v5, v6
	v_fma_f16 v5, v9, s0, v17
	v_fma_f16 v23, v10, s1, v23
	v_add_f16_e32 v3, v3, v4
	v_fma_f16 v5, v10, s14, v5
	v_fma_f16 v4, v3, s12, v23
	;; [unrolled: 1-line block ×3, first 2 shown]
	v_mul_u32_u24_e32 v5, 0x1f4, v16
	v_add_f16_e32 v21, v21, v6
	v_add3_u32 v1, 0, v5, v1
	v_pack_b32_f16 v4, v24, v4
	v_pack_b32_f16 v3, v7, v3
	;; [unrolled: 1-line block ×4, first 2 shown]
	ds_write2_b32 v1, v4, v3 offset0:50 offset1:75
	v_pack_b32_f16 v3, v18, v20
	ds_write2_b32 v1, v5, v6 offset1:25
	ds_write_b32 v1, v3 offset:400
	s_waitcnt lgkmcnt(0)
	s_barrier
	global_load_dwordx4 v[3:6], v15, s[8:9] offset:480
	ds_read2_b32 v[7:8], v13 offset1:125
	ds_read2_b32 v[9:10], v14 offset0:122 offset1:247
	ds_read_u16 v1, v13 offset:2
	ds_read_b32 v15, v13 offset:2000
	s_waitcnt vmcnt(0) lgkmcnt(0)
	s_barrier
	v_lshrrev_b32_e32 v16, 16, v8
	v_mul_f16_sdwa v17, v3, v16 dst_sel:DWORD dst_unused:UNUSED_PAD src0_sel:WORD_1 src1_sel:DWORD
	v_fma_f16 v17, v3, v8, v17
	v_mul_f16_sdwa v8, v3, v8 dst_sel:DWORD dst_unused:UNUSED_PAD src0_sel:WORD_1 src1_sel:DWORD
	v_fma_f16 v3, v3, v16, -v8
	v_lshrrev_b32_e32 v8, 16, v9
	v_mul_f16_sdwa v16, v4, v8 dst_sel:DWORD dst_unused:UNUSED_PAD src0_sel:WORD_1 src1_sel:DWORD
	v_fma_f16 v16, v4, v9, v16
	v_mul_f16_sdwa v9, v4, v9 dst_sel:DWORD dst_unused:UNUSED_PAD src0_sel:WORD_1 src1_sel:DWORD
	v_fma_f16 v4, v4, v8, -v9
	;; [unrolled: 5-line block ×4, first 2 shown]
	v_add_f16_e32 v15, v16, v9
	v_fma_f16 v15, v15, -0.5, v7
	v_sub_f16_e32 v18, v3, v6
	v_fma_f16 v19, v18, s13, v15
	v_sub_f16_e32 v20, v4, v5
	v_sub_f16_e32 v21, v17, v16
	v_sub_f16_e32 v22, v10, v9
	v_fma_f16 v15, v18, s0, v15
	v_fma_f16 v19, v20, s14, v19
	v_add_f16_e32 v21, v21, v22
	v_fma_f16 v15, v20, s1, v15
	v_add_f16_e32 v8, v17, v7
	v_fma_f16 v19, v21, s12, v19
	v_fma_f16 v15, v21, s12, v15
	v_add_f16_e32 v21, v17, v10
	v_add_f16_e32 v8, v8, v16
	v_fma_f16 v7, v21, -0.5, v7
	v_add_f16_e32 v8, v8, v9
	v_fma_f16 v21, v20, s0, v7
	v_fma_f16 v7, v20, s13, v7
	v_add_f16_e32 v20, v4, v5
	v_add_f16_e32 v8, v8, v10
	v_sub_f16_e32 v22, v16, v17
	v_sub_f16_e32 v23, v9, v10
	v_fma_f16 v20, v20, -0.5, v1
	v_sub_f16_e32 v10, v17, v10
	v_fma_f16 v21, v18, s14, v21
	v_add_f16_e32 v22, v22, v23
	v_fma_f16 v7, v18, s1, v7
	v_fma_f16 v17, v10, s0, v20
	v_sub_f16_e32 v9, v16, v9
	v_fma_f16 v21, v22, s12, v21
	v_fma_f16 v7, v22, s12, v7
	;; [unrolled: 1-line block ×3, first 2 shown]
	v_sub_f16_e32 v17, v3, v4
	v_sub_f16_e32 v22, v6, v5
	v_fma_f16 v20, v10, s13, v20
	v_add_f16_e32 v17, v17, v22
	v_fma_f16 v20, v9, s14, v20
	v_add_f16_e32 v18, v1, v3
	v_fma_f16 v16, v17, s12, v16
	v_fma_f16 v17, v17, s12, v20
	v_add_f16_e32 v20, v3, v6
	v_add_f16_e32 v18, v18, v4
	v_fma_f16 v1, v20, -0.5, v1
	v_add_f16_e32 v18, v18, v5
	v_fma_f16 v20, v9, s13, v1
	v_sub_f16_e32 v3, v4, v3
	v_sub_f16_e32 v4, v5, v6
	v_fma_f16 v1, v9, s0, v1
	v_add_f16_e32 v18, v18, v6
	v_fma_f16 v20, v10, s1, v20
	v_add_f16_e32 v3, v3, v4
	v_fma_f16 v1, v10, s14, v1
	v_fma_f16 v4, v3, s12, v20
	;; [unrolled: 1-line block ×3, first 2 shown]
	v_pack_b32_f16 v3, v8, v18
	v_pack_b32_f16 v5, v19, v16
	ds_write2_b32 v13, v3, v5 offset1:125
	v_pack_b32_f16 v3, v21, v4
	v_pack_b32_f16 v1, v7, v1
	ds_write2_b32 v14, v3, v1 offset0:122 offset1:247
	v_pack_b32_f16 v1, v15, v17
	s_lshl_b64 s[0:1], s[4:5], 2
	ds_write_b32 v13, v1 offset:2000
	v_mul_lo_u32 v1, v0, s19
	s_add_u32 s2, s2, s0
	s_addc_u32 s3, s3, s1
	s_lshl_b64 s[0:1], s[6:7], 2
	s_add_u32 s2, s2, s0
	s_waitcnt lgkmcnt(0)
	s_barrier
	ds_read2_b32 v[3:4], v11 offset1:125
	s_addc_u32 s3, s3, s1
	s_lshl_b64 s[0:1], s[10:11], 2
	s_add_u32 s0, s2, s0
	v_lshlrev_b64 v[5:6], 2, v[1:2]
	s_addc_u32 s1, s3, s1
	v_mov_b32_e32 v0, s1
	v_add_co_u32_e32 v5, vcc, s0, v5
	s_mulk_i32 s19, 0x7d
	v_addc_co_u32_e32 v6, vcc, v0, v6, vcc
	v_add_u32_e32 v1, s19, v1
	s_waitcnt lgkmcnt(0)
	global_store_dword v[5:6], v3, off
	v_lshlrev_b64 v[5:6], 2, v[1:2]
	v_add_u32_e32 v1, s19, v1
	v_add_co_u32_e32 v5, vcc, s0, v5
	v_addc_co_u32_e32 v6, vcc, v0, v6, vcc
	global_store_dword v[5:6], v4, off
	ds_read2_b32 v[3:4], v12 offset0:122 offset1:247
	v_lshlrev_b64 v[5:6], 2, v[1:2]
	v_add_u32_e32 v1, s19, v1
	v_add_co_u32_e32 v5, vcc, s0, v5
	v_addc_co_u32_e32 v6, vcc, v0, v6, vcc
	s_waitcnt lgkmcnt(0)
	global_store_dword v[5:6], v3, off
	v_lshlrev_b64 v[5:6], 2, v[1:2]
	v_add_u32_e32 v1, s19, v1
	v_add_co_u32_e32 v5, vcc, s0, v5
	ds_read_b32 v3, v11 offset:2000
	v_addc_co_u32_e32 v6, vcc, v0, v6, vcc
	v_lshlrev_b64 v[0:1], 2, v[1:2]
	v_mov_b32_e32 v2, s1
	v_add_co_u32_e32 v0, vcc, s0, v0
	v_addc_co_u32_e32 v1, vcc, v2, v1, vcc
	global_store_dword v[5:6], v4, off
	s_waitcnt lgkmcnt(0)
	global_store_dword v[0:1], v3, off
	s_endpgm
	.section	.rodata,"a",@progbits
	.p2align	6, 0x0
	.amdhsa_kernel fft_rtc_back_len625_factors_5_5_5_5_wgs_125_tpt_125_half_op_CI_CI_sbrc_z_xy_diag
		.amdhsa_group_segment_fixed_size 0
		.amdhsa_private_segment_fixed_size 0
		.amdhsa_kernarg_size 104
		.amdhsa_user_sgpr_count 6
		.amdhsa_user_sgpr_private_segment_buffer 1
		.amdhsa_user_sgpr_dispatch_ptr 0
		.amdhsa_user_sgpr_queue_ptr 0
		.amdhsa_user_sgpr_kernarg_segment_ptr 1
		.amdhsa_user_sgpr_dispatch_id 0
		.amdhsa_user_sgpr_flat_scratch_init 0
		.amdhsa_user_sgpr_private_segment_size 0
		.amdhsa_uses_dynamic_stack 0
		.amdhsa_system_sgpr_private_segment_wavefront_offset 0
		.amdhsa_system_sgpr_workgroup_id_x 1
		.amdhsa_system_sgpr_workgroup_id_y 0
		.amdhsa_system_sgpr_workgroup_id_z 0
		.amdhsa_system_sgpr_workgroup_info 0
		.amdhsa_system_vgpr_workitem_id 0
		.amdhsa_next_free_vgpr 27
		.amdhsa_next_free_sgpr 30
		.amdhsa_reserve_vcc 1
		.amdhsa_reserve_flat_scratch 0
		.amdhsa_float_round_mode_32 0
		.amdhsa_float_round_mode_16_64 0
		.amdhsa_float_denorm_mode_32 3
		.amdhsa_float_denorm_mode_16_64 3
		.amdhsa_dx10_clamp 1
		.amdhsa_ieee_mode 1
		.amdhsa_fp16_overflow 0
		.amdhsa_exception_fp_ieee_invalid_op 0
		.amdhsa_exception_fp_denorm_src 0
		.amdhsa_exception_fp_ieee_div_zero 0
		.amdhsa_exception_fp_ieee_overflow 0
		.amdhsa_exception_fp_ieee_underflow 0
		.amdhsa_exception_fp_ieee_inexact 0
		.amdhsa_exception_int_div_zero 0
	.end_amdhsa_kernel
	.text
.Lfunc_end0:
	.size	fft_rtc_back_len625_factors_5_5_5_5_wgs_125_tpt_125_half_op_CI_CI_sbrc_z_xy_diag, .Lfunc_end0-fft_rtc_back_len625_factors_5_5_5_5_wgs_125_tpt_125_half_op_CI_CI_sbrc_z_xy_diag
                                        ; -- End function
	.section	.AMDGPU.csdata,"",@progbits
; Kernel info:
; codeLenInByte = 3456
; NumSgprs: 34
; NumVgprs: 27
; ScratchSize: 0
; MemoryBound: 0
; FloatMode: 240
; IeeeMode: 1
; LDSByteSize: 0 bytes/workgroup (compile time only)
; SGPRBlocks: 4
; VGPRBlocks: 6
; NumSGPRsForWavesPerEU: 34
; NumVGPRsForWavesPerEU: 27
; Occupancy: 8
; WaveLimiterHint : 1
; COMPUTE_PGM_RSRC2:SCRATCH_EN: 0
; COMPUTE_PGM_RSRC2:USER_SGPR: 6
; COMPUTE_PGM_RSRC2:TRAP_HANDLER: 0
; COMPUTE_PGM_RSRC2:TGID_X_EN: 1
; COMPUTE_PGM_RSRC2:TGID_Y_EN: 0
; COMPUTE_PGM_RSRC2:TGID_Z_EN: 0
; COMPUTE_PGM_RSRC2:TIDIG_COMP_CNT: 0
	.type	__hip_cuid_bdfb4e3bdacbeb1e,@object ; @__hip_cuid_bdfb4e3bdacbeb1e
	.section	.bss,"aw",@nobits
	.globl	__hip_cuid_bdfb4e3bdacbeb1e
__hip_cuid_bdfb4e3bdacbeb1e:
	.byte	0                               ; 0x0
	.size	__hip_cuid_bdfb4e3bdacbeb1e, 1

	.ident	"AMD clang version 19.0.0git (https://github.com/RadeonOpenCompute/llvm-project roc-6.4.0 25133 c7fe45cf4b819c5991fe208aaa96edf142730f1d)"
	.section	".note.GNU-stack","",@progbits
	.addrsig
	.addrsig_sym __hip_cuid_bdfb4e3bdacbeb1e
	.amdgpu_metadata
---
amdhsa.kernels:
  - .args:
      - .actual_access:  read_only
        .address_space:  global
        .offset:         0
        .size:           8
        .value_kind:     global_buffer
      - .offset:         8
        .size:           8
        .value_kind:     by_value
      - .actual_access:  read_only
        .address_space:  global
        .offset:         16
        .size:           8
        .value_kind:     global_buffer
      - .actual_access:  read_only
        .address_space:  global
        .offset:         24
        .size:           8
        .value_kind:     global_buffer
      - .actual_access:  read_only
        .address_space:  global
        .offset:         32
        .size:           8
        .value_kind:     global_buffer
      - .offset:         40
        .size:           8
        .value_kind:     by_value
      - .actual_access:  read_only
        .address_space:  global
        .offset:         48
        .size:           8
        .value_kind:     global_buffer
      - .actual_access:  read_only
        .address_space:  global
        .offset:         56
        .size:           8
        .value_kind:     global_buffer
      - .offset:         64
        .size:           4
        .value_kind:     by_value
      - .actual_access:  read_only
        .address_space:  global
        .offset:         72
        .size:           8
        .value_kind:     global_buffer
      - .actual_access:  read_only
        .address_space:  global
        .offset:         80
        .size:           8
        .value_kind:     global_buffer
      - .actual_access:  read_only
        .address_space:  global
        .offset:         88
        .size:           8
        .value_kind:     global_buffer
      - .actual_access:  write_only
        .address_space:  global
        .offset:         96
        .size:           8
        .value_kind:     global_buffer
    .group_segment_fixed_size: 0
    .kernarg_segment_align: 8
    .kernarg_segment_size: 104
    .language:       OpenCL C
    .language_version:
      - 2
      - 0
    .max_flat_workgroup_size: 125
    .name:           fft_rtc_back_len625_factors_5_5_5_5_wgs_125_tpt_125_half_op_CI_CI_sbrc_z_xy_diag
    .private_segment_fixed_size: 0
    .sgpr_count:     34
    .sgpr_spill_count: 0
    .symbol:         fft_rtc_back_len625_factors_5_5_5_5_wgs_125_tpt_125_half_op_CI_CI_sbrc_z_xy_diag.kd
    .uniform_work_group_size: 1
    .uses_dynamic_stack: false
    .vgpr_count:     27
    .vgpr_spill_count: 0
    .wavefront_size: 64
amdhsa.target:   amdgcn-amd-amdhsa--gfx906
amdhsa.version:
  - 1
  - 2
...

	.end_amdgpu_metadata
